;; amdgpu-corpus repo=ROCm/rocFFT kind=compiled arch=gfx950 opt=O3
	.text
	.amdgcn_target "amdgcn-amd-amdhsa--gfx950"
	.amdhsa_code_object_version 6
	.protected	fft_rtc_fwd_len650_factors_10_5_13_wgs_195_tpt_65_sp_ip_CI_unitstride_sbrr_R2C_dirReg ; -- Begin function fft_rtc_fwd_len650_factors_10_5_13_wgs_195_tpt_65_sp_ip_CI_unitstride_sbrr_R2C_dirReg
	.globl	fft_rtc_fwd_len650_factors_10_5_13_wgs_195_tpt_65_sp_ip_CI_unitstride_sbrr_R2C_dirReg
	.p2align	8
	.type	fft_rtc_fwd_len650_factors_10_5_13_wgs_195_tpt_65_sp_ip_CI_unitstride_sbrr_R2C_dirReg,@function
fft_rtc_fwd_len650_factors_10_5_13_wgs_195_tpt_65_sp_ip_CI_unitstride_sbrr_R2C_dirReg: ; @fft_rtc_fwd_len650_factors_10_5_13_wgs_195_tpt_65_sp_ip_CI_unitstride_sbrr_R2C_dirReg
; %bb.0:
	s_load_dwordx2 s[8:9], s[0:1], 0x50
	s_load_dwordx4 s[4:7], s[0:1], 0x0
	s_load_dwordx2 s[10:11], s[0:1], 0x18
	v_mul_u32_u24_e32 v1, 0x3f1, v0
	v_lshrrev_b32_e32 v2, 16, v1
	v_mad_u64_u32 v[2:3], s[2:3], s2, 3, v[2:3]
	v_mov_b32_e32 v6, 0
	v_mov_b32_e32 v3, v6
	s_waitcnt lgkmcnt(0)
	v_cmp_lt_u64_e64 s[2:3], s[6:7], 2
	s_and_b64 vcc, exec, s[2:3]
	v_mov_b64_e32 v[4:5], 0
	v_mov_b64_e32 v[10:11], v[2:3]
	s_cbranch_vccnz .LBB0_8
; %bb.1:
	s_load_dwordx2 s[2:3], s[0:1], 0x10
	s_add_u32 s12, s10, 8
	s_addc_u32 s13, s11, 0
	s_mov_b64 s[14:15], 1
	v_mov_b64_e32 v[4:5], 0
	s_waitcnt lgkmcnt(0)
	s_add_u32 s16, s2, 8
	s_addc_u32 s17, s3, 0
	v_mov_b64_e32 v[8:9], v[2:3]
.LBB0_2:                                ; =>This Inner Loop Header: Depth=1
	s_load_dwordx2 s[18:19], s[16:17], 0x0
                                        ; implicit-def: $vgpr10_vgpr11
	s_waitcnt lgkmcnt(0)
	v_or_b32_e32 v7, s19, v9
	v_cmp_ne_u64_e32 vcc, 0, v[6:7]
	s_and_saveexec_b64 s[2:3], vcc
	s_xor_b64 s[20:21], exec, s[2:3]
	s_cbranch_execz .LBB0_4
; %bb.3:                                ;   in Loop: Header=BB0_2 Depth=1
	v_cvt_f32_u32_e32 v1, s18
	v_cvt_f32_u32_e32 v3, s19
	s_sub_u32 s2, 0, s18
	s_subb_u32 s3, 0, s19
	v_fmac_f32_e32 v1, 0x4f800000, v3
	v_rcp_f32_e32 v1, v1
	s_nop 0
	v_mul_f32_e32 v1, 0x5f7ffffc, v1
	v_mul_f32_e32 v3, 0x2f800000, v1
	v_trunc_f32_e32 v3, v3
	v_fmac_f32_e32 v1, 0xcf800000, v3
	v_cvt_u32_f32_e32 v3, v3
	v_cvt_u32_f32_e32 v1, v1
	v_mul_lo_u32 v7, s2, v3
	v_mul_hi_u32 v10, s2, v1
	v_mul_lo_u32 v11, s3, v1
	v_add_u32_e32 v7, v10, v7
	v_mul_lo_u32 v14, s2, v1
	v_add_u32_e32 v7, v7, v11
	v_mul_hi_u32 v10, v1, v14
	v_mul_hi_u32 v13, v1, v7
	v_mul_lo_u32 v12, v1, v7
	v_mov_b32_e32 v11, v6
	v_lshl_add_u64 v[10:11], v[10:11], 0, v[12:13]
	v_mul_hi_u32 v13, v3, v14
	v_mul_lo_u32 v14, v3, v14
	v_add_co_u32_e32 v10, vcc, v10, v14
	v_mul_hi_u32 v12, v3, v7
	s_nop 0
	v_addc_co_u32_e32 v10, vcc, v11, v13, vcc
	v_mov_b32_e32 v11, v6
	s_nop 0
	v_addc_co_u32_e32 v13, vcc, 0, v12, vcc
	v_mul_lo_u32 v12, v3, v7
	v_lshl_add_u64 v[10:11], v[10:11], 0, v[12:13]
	v_add_co_u32_e32 v1, vcc, v1, v10
	v_mul_hi_u32 v10, s2, v1
	s_nop 0
	v_addc_co_u32_e32 v3, vcc, v3, v11, vcc
	v_mul_lo_u32 v7, s2, v3
	v_add_u32_e32 v7, v10, v7
	v_mul_lo_u32 v10, s3, v1
	v_add_u32_e32 v7, v7, v10
	v_mul_lo_u32 v12, s2, v1
	v_mul_hi_u32 v15, v3, v12
	v_mul_lo_u32 v16, v3, v12
	v_mul_hi_u32 v11, v1, v7
	;; [unrolled: 2-line block ×3, first 2 shown]
	v_mov_b32_e32 v13, v6
	v_lshl_add_u64 v[10:11], v[12:13], 0, v[10:11]
	v_add_co_u32_e32 v10, vcc, v10, v16
	v_mul_hi_u32 v14, v3, v7
	s_nop 0
	v_addc_co_u32_e32 v10, vcc, v11, v15, vcc
	v_mul_lo_u32 v12, v3, v7
	s_nop 0
	v_addc_co_u32_e32 v13, vcc, 0, v14, vcc
	v_mov_b32_e32 v11, v6
	v_lshl_add_u64 v[10:11], v[10:11], 0, v[12:13]
	v_add_co_u32_e32 v1, vcc, v1, v10
	v_mul_hi_u32 v12, v8, v1
	s_nop 0
	v_addc_co_u32_e32 v3, vcc, v3, v11, vcc
	v_mad_u64_u32 v[10:11], s[2:3], v8, v3, 0
	v_mov_b32_e32 v13, v6
	v_lshl_add_u64 v[10:11], v[12:13], 0, v[10:11]
	v_mad_u64_u32 v[14:15], s[2:3], v9, v1, 0
	v_add_co_u32_e32 v1, vcc, v10, v14
	v_mad_u64_u32 v[12:13], s[2:3], v9, v3, 0
	s_nop 0
	v_addc_co_u32_e32 v10, vcc, v11, v15, vcc
	v_mov_b32_e32 v11, v6
	s_nop 0
	v_addc_co_u32_e32 v13, vcc, 0, v13, vcc
	v_lshl_add_u64 v[10:11], v[10:11], 0, v[12:13]
	v_mul_lo_u32 v1, s19, v10
	v_mul_lo_u32 v3, s18, v11
	v_mad_u64_u32 v[12:13], s[2:3], s18, v10, 0
	v_add3_u32 v1, v13, v3, v1
	v_sub_u32_e32 v3, v9, v1
	v_mov_b32_e32 v7, s19
	v_sub_co_u32_e32 v16, vcc, v8, v12
	v_lshl_add_u64 v[14:15], v[10:11], 0, 1
	s_nop 0
	v_subb_co_u32_e64 v3, s[2:3], v3, v7, vcc
	v_subrev_co_u32_e64 v7, s[2:3], s18, v16
	v_subb_co_u32_e32 v1, vcc, v9, v1, vcc
	s_nop 0
	v_subbrev_co_u32_e64 v3, s[2:3], 0, v3, s[2:3]
	v_cmp_le_u32_e64 s[2:3], s19, v3
	v_cmp_le_u32_e32 vcc, s19, v1
	s_nop 0
	v_cndmask_b32_e64 v12, 0, -1, s[2:3]
	v_cmp_le_u32_e64 s[2:3], s18, v7
	s_nop 1
	v_cndmask_b32_e64 v7, 0, -1, s[2:3]
	v_cmp_eq_u32_e64 s[2:3], s19, v3
	s_nop 1
	v_cndmask_b32_e64 v3, v12, v7, s[2:3]
	v_lshl_add_u64 v[12:13], v[10:11], 0, 2
	v_cmp_ne_u32_e64 s[2:3], 0, v3
	v_cndmask_b32_e64 v7, 0, -1, vcc
	v_cmp_le_u32_e32 vcc, s18, v16
	v_cndmask_b32_e64 v3, v15, v13, s[2:3]
	s_nop 0
	v_cndmask_b32_e64 v13, 0, -1, vcc
	v_cmp_eq_u32_e32 vcc, s19, v1
	s_nop 1
	v_cndmask_b32_e32 v1, v7, v13, vcc
	v_cmp_ne_u32_e32 vcc, 0, v1
	v_cndmask_b32_e64 v1, v14, v12, s[2:3]
	s_nop 0
	v_cndmask_b32_e32 v11, v11, v3, vcc
	v_cndmask_b32_e32 v10, v10, v1, vcc
.LBB0_4:                                ;   in Loop: Header=BB0_2 Depth=1
	s_andn2_saveexec_b64 s[2:3], s[20:21]
	s_cbranch_execz .LBB0_6
; %bb.5:                                ;   in Loop: Header=BB0_2 Depth=1
	v_cvt_f32_u32_e32 v1, s18
	s_sub_i32 s20, 0, s18
	v_mov_b32_e32 v11, v6
	v_rcp_iflag_f32_e32 v1, v1
	s_nop 0
	v_mul_f32_e32 v1, 0x4f7ffffe, v1
	v_cvt_u32_f32_e32 v1, v1
	v_mul_lo_u32 v3, s20, v1
	v_mul_hi_u32 v3, v1, v3
	v_add_u32_e32 v1, v1, v3
	v_mul_hi_u32 v1, v8, v1
	v_mul_lo_u32 v3, v1, s18
	v_sub_u32_e32 v3, v8, v3
	v_add_u32_e32 v7, 1, v1
	v_subrev_u32_e32 v10, s18, v3
	v_cmp_le_u32_e32 vcc, s18, v3
	s_nop 1
	v_cndmask_b32_e32 v3, v3, v10, vcc
	v_cndmask_b32_e32 v1, v1, v7, vcc
	v_add_u32_e32 v7, 1, v1
	v_cmp_le_u32_e32 vcc, s18, v3
	s_nop 1
	v_cndmask_b32_e32 v10, v1, v7, vcc
.LBB0_6:                                ;   in Loop: Header=BB0_2 Depth=1
	s_or_b64 exec, exec, s[2:3]
	v_mad_u64_u32 v[12:13], s[2:3], v10, s18, 0
	s_load_dwordx2 s[2:3], s[12:13], 0x0
	s_add_u32 s14, s14, 1
	v_mul_lo_u32 v1, v11, s18
	v_mul_lo_u32 v3, v10, s19
	s_addc_u32 s15, s15, 0
	v_add3_u32 v1, v13, v3, v1
	v_sub_co_u32_e32 v3, vcc, v8, v12
	s_add_u32 s12, s12, 8
	s_nop 0
	v_subb_co_u32_e32 v1, vcc, v9, v1, vcc
	s_addc_u32 s13, s13, 0
	v_mov_b64_e32 v[8:9], s[6:7]
	s_waitcnt lgkmcnt(0)
	v_mul_lo_u32 v1, s2, v1
	v_mul_lo_u32 v7, s3, v3
	v_mad_u64_u32 v[4:5], s[2:3], s2, v3, v[4:5]
	s_add_u32 s16, s16, 8
	v_cmp_ge_u64_e32 vcc, s[14:15], v[8:9]
	v_add3_u32 v5, v7, v5, v1
	s_addc_u32 s17, s17, 0
	s_cbranch_vccnz .LBB0_8
; %bb.7:                                ;   in Loop: Header=BB0_2 Depth=1
	v_mov_b64_e32 v[8:9], v[10:11]
	s_branch .LBB0_2
.LBB0_8:
	s_lshl_b64 s[2:3], s[6:7], 3
	s_add_u32 s2, s10, s2
	s_addc_u32 s3, s11, s3
	s_load_dwordx2 s[6:7], s[2:3], 0x0
	s_load_dwordx2 s[10:11], s[0:1], 0x20
	s_mov_b32 s2, 0x3f03f04
                                        ; implicit-def: $vgpr28
	s_waitcnt lgkmcnt(0)
	v_mad_u64_u32 v[4:5], s[0:1], s6, v10, v[4:5]
	v_mul_lo_u32 v1, s6, v11
	v_mul_lo_u32 v3, s7, v10
	s_mov_b32 s0, 0xaaaaaaab
	v_add3_u32 v5, v3, v5, v1
	v_mul_hi_u32 v1, v2, s0
	v_lshrrev_b32_e32 v1, 1, v1
	v_lshl_add_u32 v1, v1, 1, v1
	v_sub_u32_e32 v1, v2, v1
	v_mul_hi_u32 v2, v0, s2
	v_mul_u32_u24_e32 v2, 0x41, v2
	v_cmp_gt_u64_e64 s[0:1], s[10:11], v[10:11]
	v_cmp_le_u64_e32 vcc, s[10:11], v[10:11]
	v_sub_u32_e32 v24, v0, v2
	s_and_saveexec_b64 s[2:3], vcc
	s_xor_b64 s[2:3], exec, s[2:3]
; %bb.9:
	v_add_u32_e32 v28, 0x41, v24
; %bb.10:
	s_or_saveexec_b64 s[2:3], s[2:3]
	v_mul_u32_u24_e32 v0, 0x28b, v1
	v_lshl_add_u64 v[26:27], v[4:5], 3, s[8:9]
	v_lshlrev_b32_e32 v16, 3, v0
	v_lshlrev_b32_e32 v29, 3, v24
	s_xor_b64 exec, exec, s[2:3]
	s_cbranch_execz .LBB0_12
; %bb.11:
	v_mov_b32_e32 v25, 0
	v_lshl_add_u64 v[0:1], v[24:25], 3, v[26:27]
	global_load_dwordx2 v[2:3], v[0:1], off
	global_load_dwordx2 v[4:5], v[0:1], off offset:520
	global_load_dwordx2 v[6:7], v[0:1], off offset:1040
	;; [unrolled: 1-line block ×7, first 2 shown]
	v_add_co_u32_e32 v0, vcc, 0x1000, v0
	v_add_u32_e32 v28, 0x41, v24
	s_nop 0
	v_addc_co_u32_e32 v1, vcc, 0, v1, vcc
	global_load_dwordx2 v[20:21], v[0:1], off offset:64
	global_load_dwordx2 v[22:23], v[0:1], off offset:584
	v_add3_u32 v0, 0, v16, v29
	v_add_u32_e32 v1, 0x800, v0
	s_waitcnt vmcnt(8)
	ds_write2_b64 v0, v[2:3], v[4:5] offset1:65
	s_waitcnt vmcnt(6)
	ds_write2_b64 v0, v[6:7], v[8:9] offset0:130 offset1:195
	s_waitcnt vmcnt(4)
	ds_write2_b64 v1, v[10:11], v[12:13] offset0:4 offset1:69
	;; [unrolled: 2-line block ×3, first 2 shown]
	v_add_u32_e32 v0, 0x1000, v0
	s_waitcnt vmcnt(0)
	ds_write2_b64 v0, v[20:21], v[22:23] offset0:8 offset1:73
.LBB0_12:
	s_or_b64 exec, exec, s[2:3]
	v_add_u32_e32 v25, 0, v16
	v_add3_u32 v75, 0, v29, v16
	v_add_u32_e32 v74, v25, v29
	v_add_u32_e32 v19, 0x400, v75
	;; [unrolled: 1-line block ×4, first 2 shown]
	s_waitcnt lgkmcnt(0)
	s_barrier
	ds_read2_b64 v[0:3], v75 offset0:65 offset1:130
	ds_read2_b64 v[4:7], v19 offset0:67 offset1:132
	;; [unrolled: 1-line block ×3, first 2 shown]
	ds_read_b64 v[20:21], v74
	ds_read2_b64 v[12:15], v12 offset0:71 offset1:136
	ds_read_b64 v[22:23], v75 offset:4680
	s_movk_i32 s2, 0x48
	s_mov_b32 s8, 0x3f737871
	s_waitcnt lgkmcnt(3)
	v_pk_add_f32 v[30:31], v[6:7], v[10:11]
	s_waitcnt lgkmcnt(1)
	v_pk_add_f32 v[32:33], v[2:3], v[14:15] neg_lo:[0,1] neg_hi:[0,1]
	v_mad_u32_u24 v17, v24, s2, v75
	v_pk_fma_f32 v[30:31], v[30:31], 0.5, v[20:21] op_sel_hi:[1,0,1] neg_lo:[1,0,0] neg_hi:[1,0,0]
	v_pk_mul_f32 v[34:35], v[32:33], s[8:9] op_sel_hi:[1,0]
	v_pk_add_f32 v[36:37], v[6:7], v[10:11] neg_lo:[0,1] neg_hi:[0,1]
	s_mov_b32 s2, 0x3f167918
	v_pk_add_f32 v[40:41], v[2:3], v[6:7] neg_lo:[0,1] neg_hi:[0,1]
	v_pk_add_f32 v[42:43], v[14:15], v[10:11] neg_lo:[0,1] neg_hi:[0,1]
	v_pk_mul_f32 v[38:39], v[36:37], s[2:3] op_sel_hi:[1,0]
	v_pk_add_f32 v[40:41], v[40:41], v[42:43]
	v_pk_add_f32 v[42:43], v[30:31], v[34:35] op_sel:[0,1] op_sel_hi:[1,0]
	v_pk_add_f32 v[30:31], v[30:31], v[34:35] op_sel:[0,1] op_sel_hi:[1,0] neg_lo:[0,1] neg_hi:[0,1]
	v_pk_add_f32 v[34:35], v[42:43], v[38:39] op_sel:[0,1] op_sel_hi:[1,0]
	v_pk_add_f32 v[30:31], v[30:31], v[38:39] op_sel:[0,1] op_sel_hi:[1,0] neg_lo:[0,1] neg_hi:[0,1]
	v_pk_add_f32 v[38:39], v[6:7], v[2:3] neg_lo:[0,1] neg_hi:[0,1]
	v_pk_add_f32 v[42:43], v[10:11], v[14:15] neg_lo:[0,1] neg_hi:[0,1]
	;; [unrolled: 1-line block ×3, first 2 shown]
	s_waitcnt lgkmcnt(0)
	v_pk_add_f32 v[46:47], v[4:5], v[22:23]
	v_pk_add_f32 v[38:39], v[38:39], v[42:43]
	v_pk_add_f32 v[42:43], v[4:5], v[22:23] neg_lo:[0,1] neg_hi:[0,1]
	v_pk_fma_f32 v[46:47], v[46:47], 0.5, v[0:1] op_sel_hi:[1,0,1] neg_lo:[1,0,0] neg_hi:[1,0,0]
	v_pk_mul_f32 v[48:49], v[44:45], s[8:9] op_sel_hi:[1,0]
	v_pk_add_f32 v[52:53], v[8:9], v[4:5] neg_lo:[0,1] neg_hi:[0,1]
	v_pk_add_f32 v[54:55], v[12:13], v[22:23] neg_lo:[0,1] neg_hi:[0,1]
	v_pk_mul_f32 v[50:51], v[42:43], s[2:3] op_sel_hi:[1,0]
	v_pk_add_f32 v[52:53], v[52:53], v[54:55]
	v_pk_add_f32 v[54:55], v[46:47], v[48:49] op_sel:[0,1] op_sel_hi:[1,0] neg_lo:[0,1] neg_hi:[0,1]
	v_pk_add_f32 v[46:47], v[46:47], v[48:49] op_sel:[0,1] op_sel_hi:[1,0]
	v_pk_add_f32 v[48:49], v[54:55], v[50:51] op_sel:[0,1] op_sel_hi:[1,0]
	v_pk_add_f32 v[46:47], v[46:47], v[50:51] op_sel:[0,1] op_sel_hi:[1,0] neg_lo:[0,1] neg_hi:[0,1]
	s_mov_b32 s6, 0x3e9e377a
	v_mov_b32_e32 v50, v48
	v_mov_b32_e32 v51, v47
	v_pk_fma_f32 v[50:51], v[52:53], s[6:7], v[50:51] op_sel_hi:[1,0,1]
	v_mov_b32_e32 v47, v49
	v_pk_mul_f32 v[54:55], v[50:51], s[8:9] op_sel_hi:[1,0]
	s_mov_b32 s10, 0xbf737871
	v_pk_fma_f32 v[56:57], v[50:51], s[6:7], v[54:55] op_sel:[0,0,1] op_sel_hi:[1,0,0]
	v_pk_fma_f32 v[50:51], v[50:51], s[6:7], v[54:55] op_sel:[0,0,1] op_sel_hi:[1,0,0] neg_lo:[0,0,1] neg_hi:[0,0,1]
	v_pk_add_f32 v[54:55], v[2:3], v[14:15]
	v_pk_add_f32 v[2:3], v[20:21], v[2:3]
	v_pk_fma_f32 v[54:55], v[54:55], 0.5, v[20:21] op_sel_hi:[1,0,1] neg_lo:[1,0,0] neg_hi:[1,0,0]
	v_pk_add_f32 v[2:3], v[2:3], v[6:7]
	v_pk_mul_f32 v[6:7], v[36:37], s[8:9] op_sel_hi:[1,0]
	v_pk_add_f32 v[2:3], v[2:3], v[10:11]
	v_pk_add_f32 v[10:11], v[54:55], v[6:7] op_sel:[0,1] op_sel_hi:[1,0] neg_lo:[0,1] neg_hi:[0,1]
	v_pk_add_f32 v[6:7], v[54:55], v[6:7] op_sel:[0,1] op_sel_hi:[1,0]
	v_pk_mul_f32 v[20:21], v[32:33], s[2:3] op_sel_hi:[1,0]
	v_pk_fma_f32 v[36:37], v[52:53], s[6:7], v[46:47] op_sel_hi:[1,0,1]
	v_pk_add_f32 v[6:7], v[6:7], v[20:21] op_sel:[0,1] op_sel_hi:[1,0] neg_lo:[0,1] neg_hi:[0,1]
	v_pk_add_f32 v[10:11], v[10:11], v[20:21] op_sel:[0,1] op_sel_hi:[1,0]
	s_mov_b32 s11, s8
	v_pk_mul_f32 v[46:47], v[36:37], s[6:7] op_sel_hi:[1,0]
	v_mov_b32_e32 v57, v51
	v_pk_fma_f32 v[36:37], v[36:37], s[10:11], v[46:47] op_sel:[0,0,1] op_sel_hi:[1,1,0] neg_lo:[0,0,1] neg_hi:[0,0,1]
	v_mov_b32_e32 v46, v10
	v_mov_b32_e32 v47, v7
	;; [unrolled: 1-line block ×3, first 2 shown]
	v_pk_fma_f32 v[46:47], v[38:39], s[6:7], v[46:47] op_sel_hi:[1,0,1]
	v_pk_fma_f32 v[6:7], v[38:39], s[6:7], v[6:7] op_sel_hi:[1,0,1]
	v_pk_add_f32 v[2:3], v[2:3], v[14:15]
	v_pk_add_f32 v[14:15], v[0:1], v[4:5]
	v_pk_add_f32 v[10:11], v[46:47], v[56:57]
	v_pk_add_f32 v[38:39], v[6:7], v[36:37] op_sel:[0,1] op_sel_hi:[1,0]
	v_pk_add_f32 v[14:15], v[14:15], v[8:9]
	s_barrier
	ds_write2_b64 v17, v[10:11], v[38:39] offset0:2 offset1:3
	v_pk_add_f32 v[10:11], v[8:9], v[12:13]
	v_pk_add_f32 v[14:15], v[14:15], v[12:13]
	v_pk_fma_f32 v[0:1], v[10:11], 0.5, v[0:1] op_sel_hi:[1,0,1] neg_lo:[1,0,0] neg_hi:[1,0,0]
	v_pk_mul_f32 v[10:11], v[42:43], s[8:9] op_sel_hi:[1,0]
	v_pk_add_f32 v[14:15], v[14:15], v[22:23]
	v_pk_add_f32 v[4:5], v[4:5], v[8:9] neg_lo:[0,1] neg_hi:[0,1]
	v_pk_add_f32 v[8:9], v[22:23], v[12:13] neg_lo:[0,1] neg_hi:[0,1]
	v_pk_add_f32 v[12:13], v[0:1], v[10:11] op_sel:[0,1] op_sel_hi:[1,0]
	v_pk_mul_f32 v[22:23], v[44:45], s[2:3] op_sel_hi:[1,0]
	v_pk_add_f32 v[0:1], v[0:1], v[10:11] op_sel:[0,1] op_sel_hi:[1,0] neg_lo:[0,1] neg_hi:[0,1]
	v_pk_add_f32 v[4:5], v[4:5], v[8:9]
	v_pk_add_f32 v[12:13], v[22:23], v[12:13] op_sel:[1,0] op_sel_hi:[0,1]
	v_pk_add_f32 v[0:1], v[0:1], v[22:23] op_sel:[0,1] op_sel_hi:[1,0] neg_lo:[0,1] neg_hi:[0,1]
	v_mov_b32_e32 v33, v31
	v_pk_fma_f32 v[10:11], v[4:5], s[6:7], v[0:1] op_sel_hi:[1,0,1]
	v_mov_b32_e32 v1, v13
	v_mov_b32_e32 v31, v35
	v_pk_fma_f32 v[0:1], v[4:5], s[6:7], v[0:1] op_sel_hi:[1,0,1]
	s_mov_b32 s12, 0x3f4f1bbd
	v_pk_fma_f32 v[8:9], v[40:41], s[6:7], v[30:31] op_sel_hi:[1,0,1]
	v_pk_fma_f32 v[30:31], v[4:5], s[6:7], v[12:13] op_sel_hi:[1,0,1]
	s_mov_b32 s10, 0xbf167918
	s_mov_b32 s11, s2
	v_pk_mul_f32 v[4:5], v[0:1], s[12:13] op_sel_hi:[1,0]
	s_mov_b32 s13, s2
	v_pk_fma_f32 v[0:1], v[0:1], s[10:11], v[4:5] op_sel:[0,0,1] op_sel_hi:[1,1,0] neg_lo:[0,0,1] neg_hi:[0,0,1]
	v_pk_mul_f32 v[4:5], v[30:31], s[12:13] op_sel_hi:[0,1]
	s_mov_b32 s3, s12
	v_mov_b32_e32 v32, v34
	v_pk_fma_f32 v[12:13], v[10:11], s[2:3], v[4:5] op_sel:[1,0,0]
	v_pk_fma_f32 v[4:5], v[10:11], s[2:3], v[4:5] op_sel:[1,0,0] neg_lo:[0,0,1] neg_hi:[0,0,1]
	v_pk_fma_f32 v[32:33], v[40:41], s[6:7], v[32:33] op_sel_hi:[1,0,1]
	v_mov_b32_e32 v13, v5
	v_pk_add_f32 v[20:21], v[2:3], v[14:15]
	v_pk_add_f32 v[4:5], v[32:33], v[12:13]
	v_pk_add_f32 v[10:11], v[8:9], v[0:1] op_sel:[1,0] op_sel_hi:[0,1]
	ds_write2_b64 v17, v[20:21], v[4:5] offset1:1
	v_pk_add_f32 v[2:3], v[2:3], v[14:15] neg_lo:[0,1] neg_hi:[0,1]
	v_mov_b32_e32 v4, v11
	v_mov_b32_e32 v5, v10
	ds_write2_b64 v17, v[4:5], v[2:3] offset0:4 offset1:5
	v_pk_add_f32 v[2:3], v[32:33], v[12:13] neg_lo:[0,1] neg_hi:[0,1]
	v_pk_add_f32 v[4:5], v[46:47], v[56:57] neg_lo:[0,1] neg_hi:[0,1]
	v_pk_add_f32 v[0:1], v[8:9], v[0:1] op_sel:[1,0] op_sel_hi:[0,1] neg_lo:[0,1] neg_hi:[0,1]
	s_movk_i32 s3, 0xcd
	ds_write2_b64 v17, v[2:3], v[4:5] offset0:6 offset1:7
	v_pk_add_f32 v[2:3], v[6:7], v[36:37] op_sel:[0,1] op_sel_hi:[1,0] neg_lo:[0,1] neg_hi:[0,1]
	v_mov_b32_e32 v4, v1
	v_mov_b32_e32 v5, v0
	v_mul_lo_u16_sdwa v0, v28, s3 dst_sel:DWORD dst_unused:UNUSED_PAD src0_sel:BYTE_0 src1_sel:DWORD
	ds_write2_b64 v17, v[2:3], v[4:5] offset0:8 offset1:9
	v_lshrrev_b16_e32 v17, 11, v0
	v_mul_lo_u16_e32 v0, 10, v17
	v_mov_b32_e32 v4, 5
	v_sub_u16_e32 v21, v28, v0
	v_lshlrev_b32_sdwa v5, v4, v21 dst_sel:DWORD dst_unused:UNUSED_PAD src0_sel:DWORD src1_sel:BYTE_0
	s_waitcnt lgkmcnt(0)
	s_barrier
	global_load_dwordx4 v[8:11], v5, s[4:5]
	global_load_dwordx4 v[0:3], v5, s[4:5] offset:16
	v_mul_lo_u16_sdwa v5, v24, s3 dst_sel:DWORD dst_unused:UNUSED_PAD src0_sel:BYTE_0 src1_sel:DWORD
	v_lshrrev_b16_e32 v52, 11, v5
	v_mul_lo_u16_e32 v5, 10, v52
	v_sub_u16_e32 v53, v24, v5
	v_lshlrev_b32_sdwa v12, v4, v53 dst_sel:DWORD dst_unused:UNUSED_PAD src0_sel:DWORD src1_sel:BYTE_0
	global_load_dwordx4 v[4:7], v12, s[4:5] offset:16
	global_load_dwordx4 v[30:33], v12, s[4:5]
	v_add_u32_e32 v20, 0x1000, v75
	ds_read2_b64 v[34:37], v18 offset0:4 offset1:69
	ds_read2_b32 v[14:15], v19 offset0:134 offset1:135
	ds_read2_b64 v[38:41], v18 offset0:134 offset1:199
	ds_read2_b64 v[42:45], v20 offset0:8 offset1:73
	v_lshl_add_u32 v76, v28, 3, v25
	s_movk_i32 s10, 0x190
	v_cmp_gt_u32_e32 vcc, 50, v24
	s_waitcnt vmcnt(3) lgkmcnt(3)
	v_pk_mul_f32 v[22:23], v[36:37], v[10:11]
	s_waitcnt vmcnt(2)
	v_mov_b32_e32 v13, v0
	s_waitcnt lgkmcnt(1)
	v_pk_mul_f32 v[12:13], v[40:41], v[12:13] op_sel:[1,0] op_sel_hi:[0,1]
	v_pk_mul_f32 v[46:47], v[40:41], v[0:1]
	v_pk_mul_f32 v[40:41], v[40:41], v[0:1] op_sel:[1,0] op_sel_hi:[0,1]
	s_waitcnt lgkmcnt(0)
	v_pk_mul_f32 v[0:1], v[44:45], v[2:3]
	v_mul_f32_e32 v54, v15, v9
	v_mov_b32_e32 v12, v0
	v_mov_b32_e32 v46, v1
	;; [unrolled: 1-line block ×3, first 2 shown]
	v_pk_add_f32 v[12:13], v[12:13], v[46:47] neg_lo:[0,1] neg_hi:[0,1]
	v_pk_mul_f32 v[46:47], v[44:45], v[0:1]
	v_mov_b32_e32 v1, v44
	v_pk_mul_f32 v[44:45], v[0:1], v[2:3]
	s_waitcnt vmcnt(1)
	v_pk_mul_f32 v[0:1], v[4:5], v[38:39] op_sel:[1,1] op_sel_hi:[0,1]
	v_pk_fma_f32 v[2:3], v[4:5], v[38:39], v[0:1] neg_lo:[0,0,1] neg_hi:[0,0,1]
	v_pk_fma_f32 v[0:1], v[4:5], v[38:39], v[0:1] op_sel_hi:[1,0,1]
	ds_read_b64 v[38:39], v75 offset:1040
	v_mov_b32_e32 v3, v1
	v_pk_mul_f32 v[0:1], v[6:7], v[42:43] op_sel:[0,1]
	v_mov_b32_e32 v46, v40
	v_pk_fma_f32 v[4:5], v[6:7], v[42:43], v[0:1] op_sel:[0,0,1] op_sel_hi:[1,1,0] neg_lo:[0,0,1] neg_hi:[0,0,1]
	v_pk_fma_f32 v[0:1], v[6:7], v[42:43], v[0:1] op_sel:[0,0,1] op_sel_hi:[1,0,0]
	s_waitcnt vmcnt(0) lgkmcnt(0)
	v_pk_mul_f32 v[6:7], v[30:31], v[38:39] op_sel:[0,1]
	v_mov_b32_e32 v5, v1
	ds_read_b64 v[42:43], v76
	ds_read_b64 v[0:1], v74
	v_pk_fma_f32 v[48:49], v[30:31], v[38:39], v[6:7] op_sel:[0,0,1] op_sel_hi:[1,0,0]
	v_pk_fma_f32 v[6:7], v[30:31], v[38:39], v[6:7] op_sel:[0,0,1] op_sel_hi:[1,0,0] neg_lo:[0,0,1] neg_hi:[0,0,1]
	v_pk_mul_f32 v[30:31], v[32:33], v[34:35] op_sel:[0,1]
	v_mov_b32_e32 v7, v49
	v_pk_fma_f32 v[38:39], v[32:33], v[34:35], v[30:31] op_sel:[0,0,1] op_sel_hi:[1,0,0]
	v_pk_fma_f32 v[32:33], v[32:33], v[34:35], v[30:31] op_sel:[0,0,1] op_sel_hi:[1,0,0] neg_lo:[0,0,1] neg_hi:[0,0,1]
	v_pk_add_f32 v[30:31], v[6:7], v[4:5]
	v_mov_b32_e32 v33, v39
	s_waitcnt lgkmcnt(0)
	v_pk_fma_f32 v[48:49], v[30:31], 0.5, v[0:1] op_sel_hi:[1,0,1] neg_lo:[1,0,0] neg_hi:[1,0,0]
	v_pk_add_f32 v[30:31], v[32:33], v[6:7] neg_lo:[0,1] neg_hi:[0,1]
	v_pk_add_f32 v[50:51], v[2:3], v[4:5] neg_lo:[0,1] neg_hi:[0,1]
	;; [unrolled: 1-line block ×3, first 2 shown]
	v_pk_add_f32 v[50:51], v[30:31], v[50:51]
	v_pk_add_f32 v[30:31], v[0:1], v[6:7]
	v_pk_add_f32 v[38:39], v[32:33], v[2:3] neg_lo:[0,1] neg_hi:[0,1]
	v_pk_add_f32 v[30:31], v[30:31], v[32:33]
	v_pk_add_f32 v[6:7], v[6:7], v[32:33] neg_lo:[0,1] neg_hi:[0,1]
	v_pk_add_f32 v[30:31], v[30:31], v[2:3]
	v_mov_b32_e32 v44, v41
	v_pk_add_f32 v[30:31], v[30:31], v[4:5]
	v_pk_add_f32 v[4:5], v[4:5], v[2:3] neg_lo:[0,1] neg_hi:[0,1]
	v_pk_add_f32 v[2:3], v[32:33], v[2:3]
	v_pk_mul_f32 v[32:33], v[34:35], s[2:3] op_sel_hi:[1,0]
	v_pk_fma_f32 v[0:1], v[2:3], 0.5, v[0:1] op_sel_hi:[1,0,1] neg_lo:[1,0,0] neg_hi:[1,0,0]
	v_pk_mul_f32 v[34:35], v[34:35], s[8:9] op_sel_hi:[1,0]
	v_pk_mul_f32 v[2:3], v[38:39], s[8:9] op_sel_hi:[1,0]
	;; [unrolled: 1-line block ×3, first 2 shown]
	v_pk_add_f32 v[6:7], v[6:7], v[4:5]
	v_pk_add_f32 v[4:5], v[0:1], v[34:35] op_sel:[0,1] op_sel_hi:[1,0] neg_lo:[0,1] neg_hi:[0,1]
	v_pk_add_f32 v[0:1], v[0:1], v[34:35] op_sel:[0,1] op_sel_hi:[1,0]
	v_pk_add_f32 v[34:35], v[4:5], v[38:39] op_sel:[0,1] op_sel_hi:[1,0] neg_lo:[0,1] neg_hi:[0,1]
	v_pk_add_f32 v[4:5], v[48:49], v[2:3] op_sel:[0,1] op_sel_hi:[1,0]
	v_pk_add_f32 v[2:3], v[48:49], v[2:3] op_sel:[0,1] op_sel_hi:[1,0] neg_lo:[0,1] neg_hi:[0,1]
	v_pk_add_f32 v[4:5], v[4:5], v[32:33] op_sel:[0,1] op_sel_hi:[1,0] neg_lo:[0,1] neg_hi:[0,1]
	v_pk_add_f32 v[32:33], v[2:3], v[32:33] op_sel:[0,1] op_sel_hi:[1,0]
	v_mov_b32_e32 v48, v11
	v_mov_b32_e32 v2, v32
	;; [unrolled: 1-line block ×5, first 2 shown]
	v_pk_add_f32 v[38:39], v[0:1], v[38:39] op_sel:[0,1] op_sel_hi:[1,0]
	v_mov_b32_e32 v3, v5
	v_mov_b32_e32 v5, v33
	;; [unrolled: 1-line block ×3, first 2 shown]
	v_pk_mul_f32 v[36:37], v[36:37], v[48:49]
	v_mov_b32_e32 v11, v8
	v_mov_b32_e32 v0, v38
	;; [unrolled: 1-line block ×3, first 2 shown]
	v_pk_fma_f32 v[10:11], v[32:33], v[10:11], v[36:37]
	v_pk_add_f32 v[32:33], v[46:47], v[44:45]
	v_mov_b32_e32 v46, v22
	v_mov_b32_e32 v47, v13
	;; [unrolled: 1-line block ×4, first 2 shown]
	v_pk_fma_f32 v[0:1], v[6:7], s[6:7], v[0:1] op_sel_hi:[1,0,1]
	v_pk_fma_f32 v[2:3], v[50:51], s[6:7], v[2:3] op_sel_hi:[1,0,1]
	;; [unrolled: 1-line block ×3, first 2 shown]
	v_pk_add_f32 v[22:23], v[46:47], v[22:23] neg_lo:[0,1] neg_hi:[0,1]
	v_mov_b32_e32 v46, v11
	v_mov_b32_e32 v47, v33
	;; [unrolled: 1-line block ×5, first 2 shown]
	s_mov_b32 s7, s2
	v_pk_fma_f32 v[6:7], v[6:7], s[6:7], v[34:35] op_sel_hi:[1,0,1]
	v_pk_add_f32 v[34:35], v[46:47], v[48:49] neg_lo:[0,1] neg_hi:[0,1]
	v_pk_add_f32 v[46:47], v[48:49], v[46:47] neg_lo:[0,1] neg_hi:[0,1]
	v_mov_b32_e32 v50, v35
	v_mov_b32_e32 v48, v47
	v_pk_add_f32 v[46:47], v[46:47], v[48:49]
	v_pk_add_f32 v[34:35], v[34:35], v[50:51]
	v_mov_b32_e32 v47, 3
	v_pk_add_f32 v[36:37], v[10:11], v[32:33] neg_lo:[0,1] neg_hi:[0,1]
	s_mov_b32 s3, s8
	v_pk_add_f32 v[50:51], v[10:11], v[32:33]
	v_add_f32_e32 v9, v22, v13
	v_mad_u32_u24 v15, v52, s10, 0
	v_lshlrev_b32_sdwa v35, v47, v53 dst_sel:DWORD dst_unused:UNUSED_PAD src0_sel:DWORD src1_sel:BYTE_0
	v_pk_mul_f32 v[40:41], v[36:37], s[2:3]
	v_mov_b32_e32 v38, v13
	v_mul_f32_e32 v39, 0.5, v50
	v_add3_u32 v52, v15, v35, v16
	v_mad_u32_u24 v15, v17, s10, 0
	v_lshlrev_b32_sdwa v17, v47, v21 dst_sel:DWORD dst_unused:UNUSED_PAD src0_sel:DWORD src1_sel:BYTE_0
	v_fma_f32 v9, -0.5, v9, v42
	v_pk_add_f32 v[48:49], v[22:23], v[38:39] neg_lo:[0,1] neg_hi:[0,1]
	v_add3_u32 v21, v15, v17, v16
	v_add_f32_e32 v15, v9, v41
	v_mov_b32_e32 v35, v48
	v_add_f32_e32 v16, v40, v15
	v_mul_f32_e32 v15, 0x3f737871, v48
	v_fma_f32 v48, v8, v14, -v54
	v_sub_f32_e32 v40, v9, v41
	v_sub_f32_e32 v49, v48, v12
	v_mov_b32_e32 v9, 0x3f737871
	v_mov_b32_e32 v8, v22
	s_barrier
	ds_write2_b64 v52, v[30:31], v[0:1] offset1:10
	ds_write2_b64 v52, v[2:3], v[4:5] offset0:20 offset1:30
	ds_write_b64 v52, v[6:7] offset:320
	v_pk_add_f32 v[52:53], v[48:49], v[22:23] neg_lo:[0,1] neg_hi:[0,1]
	v_pk_mul_f32 v[54:55], v[48:49], v[8:9]
	v_mul_f32_e32 v57, 0.5, v51
	v_mov_b32_e32 v53, v55
	v_mov_b32_e32 v54, v12
	;; [unrolled: 1-line block ×6, first 2 shown]
	v_pk_mul_f32 v[32:33], v[34:35], s[6:7]
	v_pk_add_f32 v[38:39], v[54:55], v[38:39] neg_lo:[0,1] neg_hi:[0,1]
	v_mov_b32_e32 v47, v49
	v_pk_add_f32 v[52:53], v[38:39], v[52:53]
	v_pk_fma_f32 v[8:9], v[48:49], v[8:9], v[38:39] neg_lo:[1,0,0] neg_hi:[1,0,0]
	v_mov_b32_e32 v38, 0x3e9e377a
	v_mov_b32_e32 v39, v33
	v_pk_mul_f32 v[54:55], v[52:53], v[38:39]
	v_pk_fma_f32 v[8:9], v[34:35], s[6:7], v[8:9] neg_lo:[1,0,0] neg_hi:[1,0,0]
	v_mov_b32_e32 v49, v11
	v_mov_b32_e32 v55, v9
	;; [unrolled: 1-line block ×4, first 2 shown]
	v_pk_add_f32 v[10:11], v[42:43], v[48:49]
	v_mov_b32_e32 v17, v32
	v_pk_add_f32 v[8:9], v[10:11], v[8:9]
	v_add_f32_e32 v10, v48, v12
	v_fma_f32 v56, -0.5, v10, v42
	v_mov_b32_e32 v42, v22
	v_mov_b32_e32 v49, v57
	v_pk_add_f32 v[8:9], v[8:9], v[50:51]
	v_pk_mul_f32 v[50:51], v[46:47], s[6:7]
	v_pk_add_f32 v[10:11], v[16:17], v[54:55]
	v_pk_add_f32 v[16:17], v[42:43], v[48:49] neg_lo:[0,1] neg_hi:[0,1]
	v_mov_b32_e32 v14, v23
	s_mov_b32 s9, s2
	v_pk_add_f32 v[22:23], v[16:17], v[14:15]
	v_mov_b32_e32 v39, v51
	v_pk_mul_f32 v[44:45], v[36:37], s[8:9]
	v_pk_mul_f32 v[38:39], v[22:23], v[38:39]
	v_pk_fma_f32 v[22:23], v[46:47], s[6:7], v[22:23] neg_lo:[1,0,0] neg_hi:[1,0,0]
	v_mov_b32_e32 v57, v15
	v_mov_b32_e32 v39, v23
	v_pk_fma_f32 v[14:15], v[36:37], s[8:9], v[56:57]
	v_pk_add_f32 v[16:17], v[16:17], v[56:57] neg_lo:[0,1] neg_hi:[0,1]
	v_mov_b32_e32 v22, v45
	v_mov_b32_e32 v23, v51
	v_pk_add_f32 v[8:9], v[8:9], v[12:13]
	v_sub_f32_e32 v12, v56, v44
	v_pk_add_f32 v[14:15], v[14:15], v[22:23] neg_lo:[0,1] neg_hi:[0,1]
	v_pk_fma_f32 v[16:17], v[46:47], s[6:7], v[16:17]
	v_mov_b32_e32 v41, v53
	v_add_f32_e32 v12, v45, v12
	v_mov_b32_e32 v13, v50
	v_mov_b32_e32 v15, v17
	v_pk_fma_f32 v[16:17], v[36:37], s[2:3], v[40:41] neg_lo:[1,0,0] neg_hi:[1,0,0]
	v_pk_fma_f32 v[22:23], v[34:35], s[6:7], v[52:53]
	v_pk_add_f32 v[12:13], v[12:13], v[38:39]
	v_mov_b32_e32 v39, v50
	v_mov_b32_e32 v17, v23
	v_mov_b32_e32 v55, v32
	v_pk_add_f32 v[14:15], v[38:39], v[14:15]
	v_pk_add_f32 v[16:17], v[54:55], v[16:17]
	ds_write2_b64 v21, v[8:9], v[10:11] offset1:10
	ds_write2_b64 v21, v[12:13], v[14:15] offset0:20 offset1:30
	ds_write_b64 v21, v[16:17] offset:320
	s_waitcnt lgkmcnt(0)
	s_barrier
	s_waitcnt lgkmcnt(0)
                                        ; implicit-def: $vgpr23
	s_and_saveexec_b64 s[2:3], vcc
	s_cbranch_execz .LBB0_14
; %bb.13:
	ds_read_b64 v[30:31], v74
	ds_read2_b64 v[0:3], v75 offset0:50 offset1:100
	ds_read2_b64 v[4:7], v75 offset0:150 offset1:200
	ds_read2_b64 v[8:11], v19 offset0:122 offset1:172
	ds_read2_b64 v[12:15], v18 offset0:94 offset1:144
	ds_read2_b64 v[16:19], v18 offset0:194 offset1:244
	ds_read2_b64 v[20:23], v20 offset0:38 offset1:88
.LBB0_14:
	s_or_b64 exec, exec, s[2:3]
	s_waitcnt lgkmcnt(0)
	s_barrier
	s_and_saveexec_b64 s[2:3], vcc
	s_cbranch_execz .LBB0_16
; %bb.15:
	v_subrev_u32_e32 v32, 50, v24
	v_cndmask_b32_e32 v32, v32, v24, vcc
	v_mul_i32_i24_e32 v32, 12, v32
	v_mov_b32_e32 v33, 0
	v_lshl_add_u64 v[32:33], v[32:33], 3, s[4:5]
	global_load_dwordx4 v[36:39], v[32:33], off offset:400
	global_load_dwordx4 v[40:43], v[32:33], off offset:384
	;; [unrolled: 1-line block ×6, first 2 shown]
	v_mov_b32_e32 v32, v23
	v_mov_b32_e32 v34, v21
	;; [unrolled: 1-line block ×12, first 2 shown]
	s_mov_b32 s10, 0xbf3f9e67
	s_mov_b32 s12, 0x3df6dbef
	;; [unrolled: 1-line block ×41, first 2 shown]
	s_waitcnt vmcnt(5)
	v_pk_mul_f32 v[84:85], v[32:33], v[38:39] op_sel_hi:[0,1]
	v_pk_mul_f32 v[86:87], v[34:35], v[36:37] op_sel_hi:[0,1]
	s_waitcnt vmcnt(4)
	v_pk_mul_f32 v[60:61], v[60:61], v[42:43] op_sel_hi:[0,1]
	v_pk_mul_f32 v[62:63], v[62:63], v[40:41] op_sel_hi:[0,1]
	;; [unrolled: 3-line block ×4, first 2 shown]
	s_waitcnt vmcnt(1)
	v_pk_mul_f32 v[88:89], v[4:5], v[52:53] op_sel:[0,1] op_sel_hi:[1,0]
	v_pk_mul_f32 v[78:79], v[78:79], v[54:55] op_sel_hi:[0,1]
	s_waitcnt vmcnt(0)
	v_mov_b32_e32 v90, v59
	v_mov_b32_e32 v91, v58
	v_pk_mul_f32 v[80:81], v[80:81], v[56:57] op_sel:[0,1] op_sel_hi:[1,0]
	v_pk_mul_f32 v[92:93], v[0:1], v[56:57] op_sel:[0,1] op_sel_hi:[1,0]
	v_pk_fma_f32 v[32:33], v[22:23], v[38:39], v[84:85] op_sel:[0,0,1] op_sel_hi:[0,1,0] neg_lo:[0,0,1] neg_hi:[0,0,1]
	v_pk_fma_f32 v[22:23], v[22:23], v[38:39], v[84:85] op_sel:[0,0,1] op_sel_hi:[0,1,0]
	v_pk_fma_f32 v[34:35], v[20:21], v[36:37], v[86:87] op_sel:[0,0,1] op_sel_hi:[0,1,0] neg_lo:[0,0,1] neg_hi:[0,0,1]
	v_pk_fma_f32 v[20:21], v[20:21], v[36:37], v[86:87] op_sel:[0,0,1] op_sel_hi:[0,1,0]
	;; [unrolled: 2-line block ×6, first 2 shown]
	v_pk_mul_f32 v[72:73], v[72:73], v[52:53] op_sel:[0,1] op_sel_hi:[1,0]
	v_pk_fma_f32 v[12:13], v[8:9], v[48:49], v[68:69] op_sel:[0,0,1] op_sel_hi:[1,1,0] neg_lo:[0,0,1] neg_hi:[0,0,1]
	v_pk_fma_f32 v[48:49], v[8:9], v[48:49], v[68:69] op_sel:[0,0,1] op_sel_hi:[0,1,0]
	v_pk_fma_f32 v[8:9], v[10:11], v[50:51], v[70:71] op_sel:[0,0,1] op_sel_hi:[1,1,0] neg_lo:[0,0,1] neg_hi:[0,0,1]
	v_pk_fma_f32 v[50:51], v[10:11], v[50:51], v[70:71] op_sel:[0,0,1] op_sel_hi:[0,1,0]
	v_mov_b32_e32 v42, v89
	v_pk_fma_f32 v[40:41], v[6:7], v[54:55], v[78:79] op_sel:[0,0,1] op_sel_hi:[1,1,0] neg_lo:[0,0,1] neg_hi:[0,0,1]
	v_pk_fma_f32 v[54:55], v[6:7], v[54:55], v[78:79] op_sel:[0,0,1] op_sel_hi:[0,1,0]
	v_pk_fma_f32 v[6:7], v[0:1], v[56:57], v[80:81] neg_lo:[0,0,1] neg_hi:[0,0,1]
	v_mov_b32_e32 v44, v93
	v_pk_mul_f32 v[62:63], v[82:83], v[90:91]
	v_pk_mul_f32 v[64:65], v[2:3], v[90:91]
	v_pk_fma_f32 v[10:11], v[4:5], v[52:53], v[72:73] neg_lo:[0,0,1] neg_hi:[0,0,1]
	v_pk_fma_f32 v[4:5], v[4:5], v[52:53], v[42:43] op_sel:[0,1,0] op_sel_hi:[1,0,1]
	v_pk_fma_f32 v[52:53], v[0:1], v[56:57], v[44:45] op_sel:[0,1,0] op_sel_hi:[1,0,1]
	v_pk_fma_f32 v[42:43], v[2:3], v[58:59], v[62:63] neg_lo:[0,0,1] neg_hi:[0,0,1]
	v_mov_b32_e32 v0, v65
	v_pk_add_f32 v[56:57], v[6:7], v[32:33] neg_lo:[0,1] neg_hi:[0,1]
	v_mov_b32_e32 v9, v51
	v_pk_add_f32 v[50:51], v[6:7], v[32:33]
	v_mov_b32_e32 v19, v61
	v_mov_b32_e32 v41, v55
	v_pk_add_f32 v[54:55], v[10:11], v[36:37] neg_lo:[0,1] neg_hi:[0,1]
	v_mov_b32_e32 v17, v47
	v_mov_b32_e32 v13, v49
	;; [unrolled: 1-line block ×3, first 2 shown]
	v_pk_add_f32 v[46:47], v[10:11], v[36:37]
	v_pk_fma_f32 v[44:45], v[2:3], v[90:91], v[0:1]
	v_pk_add_f32 v[48:49], v[42:43], v[34:35] neg_lo:[0,1] neg_hi:[0,1]
	v_mov_b32_e32 v51, v56
	v_pk_add_f32 v[56:57], v[42:43], v[34:35]
	v_pk_add_f32 v[60:61], v[40:41], v[18:19] neg_lo:[0,1] neg_hi:[0,1]
	v_pk_add_f32 v[2:3], v[40:41], v[18:19]
	v_pk_add_f32 v[62:63], v[12:13], v[16:17] neg_lo:[0,1] neg_hi:[0,1]
	;; [unrolled: 2-line block ×3, first 2 shown]
	v_mov_b32_e32 v47, v54
	v_mov_b32_e32 v57, v48
	v_pk_add_f32 v[48:49], v[8:9], v[14:15]
	v_mov_b32_e32 v54, v23
	v_mov_b32_e32 v11, v52
	;; [unrolled: 1-line block ×12, first 2 shown]
	v_pk_add_f32 v[64:65], v[52:53], v[54:55] neg_lo:[0,1] neg_hi:[0,1]
	v_pk_add_f32 v[52:53], v[32:33], v[20:21]
	v_mov_b32_e32 v20, v21
	v_pk_add_f32 v[54:55], v[10:11], v[22:23]
	v_pk_add_f32 v[66:67], v[44:45], v[20:21] neg_lo:[0,1] neg_hi:[0,1]
	v_mov_b32_e32 v54, v64
	v_pk_mul_f32 v[78:79], v[50:51], s[10:11]
	v_mov_b32_e32 v52, v66
	v_pk_fma_f32 v[68:69], v[64:65], s[6:7], v[78:79] neg_lo:[1,0,0] neg_hi:[1,0,0]
	v_pk_fma_f32 v[80:81], v[54:55], s[6:7], v[78:79]
	v_pk_mul_f32 v[82:83], v[56:57], s[14:15]
	v_mov_b32_e32 v69, v81
	v_pk_fma_f32 v[70:71], v[66:67], s[8:9], v[82:83] neg_lo:[1,0,0] neg_hi:[1,0,0]
	v_pk_fma_f32 v[84:85], v[52:53], s[8:9], v[82:83]
	v_pk_add_f32 v[68:69], v[30:31], v[68:69]
	v_mov_b32_e32 v71, v85
	v_mov_b32_e32 v33, v4
	;; [unrolled: 1-line block ×3, first 2 shown]
	v_pk_add_f32 v[70:71], v[70:71], v[68:69]
	v_pk_add_f32 v[68:69], v[32:33], v[38:39]
	v_pk_add_f32 v[72:73], v[4:5], v[20:21] neg_lo:[0,1] neg_hi:[0,1]
	v_pk_mul_f32 v[86:87], v[46:47], s[28:29]
	v_mov_b32_e32 v68, v72
	v_pk_fma_f32 v[88:89], v[72:73], s[16:17], v[86:87] neg_lo:[1,0,0] neg_hi:[1,0,0]
	v_pk_fma_f32 v[90:91], v[68:69], s[16:17], v[86:87]
	v_add_u32_e32 v5, 0x400, v75
	v_mov_b32_e32 v89, v91
	v_pk_add_f32 v[70:71], v[88:89], v[70:71]
	v_pk_mul_f32 v[88:89], v[58:59], s[42:43]
	v_pk_fma_f32 v[78:79], v[54:55], s[6:7], v[78:79] neg_lo:[0,0,1] neg_hi:[0,0,1]
	v_pk_fma_f32 v[92:93], v[2:3], s[40:41], v[88:89] neg_lo:[1,0,0] neg_hi:[1,0,0]
	v_pk_fma_f32 v[94:95], v[2:3], s[40:41], v[88:89]
	v_mov_b32_e32 v81, v79
	v_mov_b32_e32 v93, v95
	v_pk_add_f32 v[92:93], v[92:93], v[70:71]
	v_pk_mul_f32 v[70:71], v[50:51], s[26:27]
	s_mov_b32 s27, 0x3eedf032
	s_mov_b32 s24, s27
	v_pk_mul_f32 v[96:97], v[60:61], s[26:27]
	v_pk_mul_f32 v[110:111], v[56:57], s[26:27]
	v_pk_fma_f32 v[98:99], v[0:1], s[24:25], v[96:97] neg_lo:[1,0,0] neg_hi:[1,0,0]
	v_pk_fma_f32 v[100:101], v[0:1], s[24:25], v[96:97]
	v_pk_fma_f32 v[112:113], v[66:67], s[24:25], v[110:111] neg_lo:[1,0,0] neg_hi:[1,0,0]
	v_mov_b32_e32 v99, v101
	v_pk_add_f32 v[92:93], v[98:99], v[92:93]
	v_pk_mul_f32 v[98:99], v[62:63], s[34:35]
	v_pk_fma_f32 v[114:115], v[52:53], s[24:25], v[110:111]
	v_pk_fma_f32 v[102:103], v[48:49], s[20:21], v[98:99] neg_lo:[1,0,0] neg_hi:[1,0,0]
	v_pk_fma_f32 v[104:105], v[48:49], s[20:21], v[98:99]
	v_mov_b32_e32 v113, v115
	v_mov_b32_e32 v103, v105
	v_pk_add_f32 v[92:93], v[102:103], v[92:93]
	v_pk_mul_f32 v[102:103], v[50:51], s[30:31]
	v_pk_fma_f32 v[78:79], v[52:53], s[8:9], v[82:83] neg_lo:[0,0,1] neg_hi:[0,0,1]
	v_pk_fma_f32 v[106:107], v[64:65], s[22:23], v[102:103] neg_lo:[1,0,0] neg_hi:[1,0,0]
	v_pk_fma_f32 v[108:109], v[54:55], s[22:23], v[102:103]
	v_mov_b32_e32 v85, v79
	v_mov_b32_e32 v107, v109
	v_pk_add_f32 v[106:107], v[30:31], v[106:107]
	v_pk_add_f32 v[78:79], v[30:31], v[80:81]
	;; [unrolled: 1-line block ×3, first 2 shown]
	v_pk_mul_f32 v[112:113], v[46:47], s[10:11]
	v_pk_fma_f32 v[80:81], v[68:69], s[16:17], v[86:87] neg_lo:[0,0,1] neg_hi:[0,0,1]
	v_pk_fma_f32 v[116:117], v[72:73], s[6:7], v[112:113] neg_lo:[1,0,0] neg_hi:[1,0,0]
	v_pk_fma_f32 v[118:119], v[68:69], s[6:7], v[112:113]
	v_pk_add_f32 v[78:79], v[84:85], v[78:79]
	v_mov_b32_e32 v117, v119
	v_pk_add_f32 v[106:107], v[116:117], v[106:107]
	v_pk_mul_f32 v[116:117], v[58:59], s[48:49]
	v_mov_b32_e32 v91, v81
	v_pk_fma_f32 v[120:121], v[2:3], s[46:47], v[116:117] neg_lo:[1,0,0] neg_hi:[1,0,0]
	v_pk_fma_f32 v[122:123], v[2:3], s[46:47], v[116:117]
	v_pk_fma_f32 v[80:81], v[2:3], s[40:41], v[88:89] neg_lo:[0,0,1] neg_hi:[0,0,1]
	v_mov_b32_e32 v121, v123
	v_pk_add_f32 v[106:107], v[120:121], v[106:107]
	v_pk_mul_f32 v[120:121], v[60:61], s[34:35]
	v_pk_add_f32 v[78:79], v[90:91], v[78:79]
	v_pk_fma_f32 v[124:125], v[0:1], s[20:21], v[120:121] neg_lo:[1,0,0] neg_hi:[1,0,0]
	v_pk_fma_f32 v[126:127], v[0:1], s[20:21], v[120:121]
	v_mov_b32_e32 v95, v81
	v_mov_b32_e32 v125, v127
	v_pk_add_f32 v[106:107], v[124:125], v[106:107]
	v_pk_mul_f32 v[124:125], v[62:63], s[14:15]
	v_pk_fma_f32 v[80:81], v[0:1], s[24:25], v[96:97] neg_lo:[0,0,1] neg_hi:[0,0,1]
	v_pk_fma_f32 v[128:129], v[48:49], s[8:9], v[124:125] neg_lo:[1,0,0] neg_hi:[1,0,0]
	v_pk_fma_f32 v[130:131], v[48:49], s[8:9], v[124:125]
	v_pk_add_f32 v[78:79], v[94:95], v[78:79]
	v_mov_b32_e32 v129, v131
	v_pk_add_f32 v[106:107], v[128:129], v[106:107]
	ds_write2_b64 v5, v[92:93], v[106:107] offset0:122 offset1:172
	v_pk_fma_f32 v[92:93], v[54:55], s[22:23], v[102:103] neg_lo:[0,0,1] neg_hi:[0,0,1]
	v_pk_fma_f32 v[102:103], v[68:69], s[6:7], v[112:113] neg_lo:[0,0,1] neg_hi:[0,0,1]
	v_mov_b32_e32 v109, v93
	v_pk_fma_f32 v[92:93], v[52:53], s[24:25], v[110:111] neg_lo:[0,0,1] neg_hi:[0,0,1]
	v_mov_b32_e32 v119, v103
	v_mov_b32_e32 v115, v93
	v_pk_add_f32 v[92:93], v[30:31], v[108:109]
	v_pk_fma_f32 v[102:103], v[2:3], s[46:47], v[116:117] neg_lo:[0,0,1] neg_hi:[0,0,1]
	v_pk_add_f32 v[92:93], v[114:115], v[92:93]
	v_mov_b32_e32 v123, v103
	v_pk_add_f32 v[92:93], v[118:119], v[92:93]
	v_pk_fma_f32 v[102:103], v[0:1], s[20:21], v[120:121] neg_lo:[0,0,1] neg_hi:[0,0,1]
	v_pk_add_f32 v[92:93], v[122:123], v[92:93]
	v_mov_b32_e32 v127, v103
	v_pk_fma_f32 v[102:103], v[48:49], s[8:9], v[124:125] neg_lo:[0,0,1] neg_hi:[0,0,1]
	v_mov_b32_e32 v101, v81
	v_pk_fma_f32 v[80:81], v[48:49], s[20:21], v[98:99] neg_lo:[0,0,1] neg_hi:[0,0,1]
	v_pk_add_f32 v[92:93], v[126:127], v[92:93]
	v_mov_b32_e32 v131, v103
	v_pk_add_f32 v[78:79], v[100:101], v[78:79]
	v_mov_b32_e32 v105, v81
	v_pk_add_f32 v[92:93], v[130:131], v[92:93]
	v_pk_add_f32 v[78:79], v[104:105], v[78:79]
	v_add_u32_e32 v5, 0x800, v75
	ds_write2_b64 v5, v[92:93], v[78:79] offset0:94 offset1:144
	v_pk_mul_f32 v[78:79], v[50:51], s[34:35]
	v_mov_b32_e32 v22, v32
	v_pk_fma_f32 v[80:81], v[64:65], s[20:21], v[78:79] neg_lo:[1,0,0] neg_hi:[1,0,0]
	v_pk_fma_f32 v[82:83], v[54:55], s[20:21], v[78:79]
	v_pk_fma_f32 v[78:79], v[54:55], s[20:21], v[78:79] neg_lo:[0,0,1] neg_hi:[0,0,1]
	v_mov_b32_e32 v81, v83
	v_mov_b32_e32 v83, v79
	v_pk_mul_f32 v[78:79], v[56:57], s[44:45]
	v_pk_add_f32 v[32:33], v[30:31], v[10:11]
	v_pk_fma_f32 v[84:85], v[66:67], s[38:39], v[78:79] neg_lo:[1,0,0] neg_hi:[1,0,0]
	v_pk_fma_f32 v[86:87], v[52:53], s[38:39], v[78:79]
	v_pk_fma_f32 v[78:79], v[52:53], s[38:39], v[78:79] neg_lo:[0,0,1] neg_hi:[0,0,1]
	v_mov_b32_e32 v85, v87
	v_mov_b32_e32 v87, v79
	v_pk_add_f32 v[78:79], v[30:31], v[82:83]
	v_pk_mul_f32 v[82:83], v[46:47], s[26:27]
	v_pk_add_f32 v[78:79], v[86:87], v[78:79]
	v_pk_fma_f32 v[86:87], v[72:73], s[24:25], v[82:83] neg_lo:[1,0,0] neg_hi:[1,0,0]
	v_pk_fma_f32 v[88:89], v[68:69], s[24:25], v[82:83]
	v_pk_fma_f32 v[82:83], v[68:69], s[24:25], v[82:83] neg_lo:[0,0,1] neg_hi:[0,0,1]
	v_mov_b32_e32 v87, v89
	v_mov_b32_e32 v89, v83
	v_pk_mul_f32 v[82:83], v[58:59], s[12:13]
	v_pk_add_f32 v[78:79], v[88:89], v[78:79]
	v_pk_fma_f32 v[88:89], v[2:3], s[36:37], v[82:83] neg_lo:[1,0,0] neg_hi:[1,0,0]
	v_pk_fma_f32 v[90:91], v[2:3], s[36:37], v[82:83]
	v_pk_fma_f32 v[82:83], v[2:3], s[36:37], v[82:83] neg_lo:[0,0,1] neg_hi:[0,0,1]
	v_mov_b32_e32 v89, v91
	v_mov_b32_e32 v91, v83
	;; [unrolled: 7-line block ×5, first 2 shown]
	v_pk_mul_f32 v[82:83], v[56:57], s[30:31]
	s_mov_b32 s41, 0x3f6f5d39
	v_pk_fma_f32 v[98:99], v[66:67], s[22:23], v[82:83] neg_lo:[1,0,0] neg_hi:[1,0,0]
	v_pk_fma_f32 v[100:101], v[52:53], s[22:23], v[82:83]
	v_pk_fma_f32 v[82:83], v[52:53], s[22:23], v[82:83] neg_lo:[0,0,1] neg_hi:[0,0,1]
	s_mov_b32 s40, s34
	v_mov_b32_e32 v99, v101
	v_mov_b32_e32 v101, v83
	v_pk_add_f32 v[82:83], v[30:31], v[96:97]
	s_mov_b32 s42, s41
	s_mov_b32 s43, s34
	v_pk_mul_f32 v[96:97], v[46:47], s[40:41]
	v_pk_add_f32 v[82:83], v[100:101], v[82:83]
	v_pk_fma_f32 v[100:101], v[72:73], s[42:43], v[96:97] neg_lo:[1,0,0] neg_hi:[1,0,0]
	v_pk_fma_f32 v[102:103], v[68:69], s[42:43], v[96:97]
	v_pk_fma_f32 v[96:97], v[68:69], s[42:43], v[96:97] neg_lo:[0,0,1] neg_hi:[0,0,1]
	v_mov_b32_e32 v101, v103
	v_mov_b32_e32 v103, v97
	v_pk_mul_f32 v[96:97], v[58:59], s[26:27]
	v_pk_add_f32 v[82:83], v[102:103], v[82:83]
	v_pk_fma_f32 v[102:103], v[2:3], s[24:25], v[96:97] neg_lo:[1,0,0] neg_hi:[1,0,0]
	v_pk_fma_f32 v[104:105], v[2:3], s[24:25], v[96:97]
	v_pk_fma_f32 v[96:97], v[2:3], s[24:25], v[96:97] neg_lo:[0,0,1] neg_hi:[0,0,1]
	v_mov_b32_e32 v103, v105
	v_mov_b32_e32 v105, v97
	;; [unrolled: 7-line block ×4, first 2 shown]
	v_pk_add_f32 v[82:83], v[108:109], v[82:83]
	ds_write2_b64 v5, v[78:79], v[82:83] offset0:194 offset1:244
	v_pk_fma_f32 v[78:79], v[64:65], s[18:19], v[70:71] neg_lo:[1,0,0] neg_hi:[1,0,0]
	v_pk_fma_f32 v[82:83], v[54:55], s[18:19], v[70:71]
	v_pk_mul_f32 v[96:97], v[56:57], s[28:29]
	v_mov_b32_e32 v79, v83
	v_pk_fma_f32 v[108:109], v[66:67], s[16:17], v[96:97] neg_lo:[1,0,0] neg_hi:[1,0,0]
	v_pk_fma_f32 v[110:111], v[52:53], s[16:17], v[96:97]
	v_pk_add_f32 v[78:79], v[30:31], v[78:79]
	v_mov_b32_e32 v109, v111
	v_pk_add_f32 v[78:79], v[108:109], v[78:79]
	v_pk_mul_f32 v[108:109], v[46:47], s[12:13]
	v_pk_add_f32 v[6:7], v[30:31], v[6:7]
	v_pk_fma_f32 v[112:113], v[72:73], s[36:37], v[108:109] neg_lo:[1,0,0] neg_hi:[1,0,0]
	v_pk_fma_f32 v[114:115], v[68:69], s[36:37], v[108:109]
	v_pk_mul_f32 v[50:51], v[50:51], s[28:29]
	v_mov_b32_e32 v113, v115
	v_pk_add_f32 v[78:79], v[112:113], v[78:79]
	v_pk_mul_f32 v[112:113], v[58:59], s[34:35]
	v_mov_b32_e32 v7, v33
	v_pk_fma_f32 v[116:117], v[2:3], s[20:21], v[112:113] neg_lo:[1,0,0] neg_hi:[1,0,0]
	v_pk_fma_f32 v[118:119], v[2:3], s[20:21], v[112:113]
	v_mov_b32_e32 v43, v44
	v_mov_b32_e32 v117, v119
	v_pk_add_f32 v[78:79], v[116:117], v[78:79]
	v_pk_mul_f32 v[116:117], v[60:61], s[10:11]
	v_pk_fma_f32 v[64:65], v[64:65], s[16:17], v[50:51] neg_lo:[1,0,0] neg_hi:[1,0,0]
	v_pk_fma_f32 v[120:121], v[0:1], s[6:7], v[116:117] neg_lo:[1,0,0] neg_hi:[1,0,0]
	v_pk_fma_f32 v[122:123], v[0:1], s[6:7], v[116:117]
	v_pk_mul_f32 v[56:57], v[56:57], s[34:35]
	v_mov_b32_e32 v121, v123
	v_pk_add_f32 v[78:79], v[120:121], v[78:79]
	v_pk_mul_f32 v[120:121], v[62:63], s[30:31]
	v_pk_add_f32 v[6:7], v[6:7], v[42:43]
	v_pk_fma_f32 v[124:125], v[48:49], s[22:23], v[120:121] neg_lo:[1,0,0] neg_hi:[1,0,0]
	v_pk_fma_f32 v[126:127], v[48:49], s[22:23], v[120:121]
	v_mov_b32_e32 v11, v4
	v_mov_b32_e32 v125, v127
	v_pk_add_f32 v[78:79], v[124:125], v[78:79]
	v_pk_fma_f32 v[124:125], v[54:55], s[16:17], v[50:51]
	v_pk_fma_f32 v[66:67], v[66:67], s[20:21], v[56:57] neg_lo:[1,0,0] neg_hi:[1,0,0]
	v_mov_b32_e32 v65, v125
	v_pk_fma_f32 v[128:129], v[52:53], s[20:21], v[56:57]
	v_pk_add_f32 v[4:5], v[6:7], v[10:11]
	v_pk_add_f32 v[64:65], v[30:31], v[64:65]
	v_mov_b32_e32 v67, v129
	v_pk_mul_f32 v[46:47], v[46:47], s[30:31]
	v_pk_add_f32 v[4:5], v[4:5], v[40:41]
	v_pk_add_f32 v[64:65], v[66:67], v[64:65]
	v_pk_fma_f32 v[66:67], v[72:73], s[22:23], v[46:47] neg_lo:[1,0,0] neg_hi:[1,0,0]
	v_pk_fma_f32 v[72:73], v[68:69], s[22:23], v[46:47]
	v_pk_add_f32 v[4:5], v[4:5], v[12:13]
	v_mov_b32_e32 v67, v73
	v_pk_mul_f32 v[58:59], v[58:59], s[44:45]
	v_pk_add_f32 v[4:5], v[4:5], v[8:9]
	v_pk_add_f32 v[64:65], v[66:67], v[64:65]
	v_pk_fma_f32 v[66:67], v[2:3], s[38:39], v[58:59] neg_lo:[1,0,0] neg_hi:[1,0,0]
	v_pk_fma_f32 v[130:131], v[2:3], s[38:39], v[58:59]
	v_pk_add_f32 v[4:5], v[4:5], v[14:15]
	v_mov_b32_e32 v67, v131
	v_pk_mul_f32 v[60:61], v[60:61], s[14:15]
	v_pk_add_f32 v[4:5], v[4:5], v[16:17]
	v_pk_fma_f32 v[6:7], v[68:69], s[22:23], v[46:47] neg_lo:[0,0,1] neg_hi:[0,0,1]
	v_pk_add_f32 v[64:65], v[66:67], v[64:65]
	v_pk_fma_f32 v[66:67], v[0:1], s[8:9], v[60:61] neg_lo:[1,0,0] neg_hi:[1,0,0]
	v_pk_fma_f32 v[132:133], v[0:1], s[8:9], v[60:61]
	v_mov_b32_e32 v38, v36
	v_pk_add_f32 v[4:5], v[4:5], v[18:19]
	v_mov_b32_e32 v73, v7
	v_pk_fma_f32 v[6:7], v[2:3], s[38:39], v[58:59] neg_lo:[0,0,1] neg_hi:[0,0,1]
	v_mov_b32_e32 v67, v133
	v_pk_mul_f32 v[62:63], v[62:63], s[26:27]
	v_mov_b32_e32 v20, v34
	v_pk_add_f32 v[4:5], v[4:5], v[38:39]
	v_mov_b32_e32 v131, v7
	v_pk_fma_f32 v[6:7], v[0:1], s[8:9], v[60:61] neg_lo:[0,0,1] neg_hi:[0,0,1]
	v_pk_add_f32 v[64:65], v[66:67], v[64:65]
	v_pk_fma_f32 v[66:67], v[48:49], s[24:25], v[62:63] neg_lo:[1,0,0] neg_hi:[1,0,0]
	v_pk_fma_f32 v[134:135], v[48:49], s[24:25], v[62:63]
	v_pk_add_f32 v[4:5], v[4:5], v[20:21]
	v_mov_b32_e32 v133, v7
	v_pk_fma_f32 v[6:7], v[48:49], s[24:25], v[62:63] neg_lo:[0,0,1] neg_hi:[0,0,1]
	v_mov_b32_e32 v67, v135
	v_pk_add_f32 v[4:5], v[4:5], v[22:23]
	v_mov_b32_e32 v135, v7
	v_pk_fma_f32 v[6:7], v[54:55], s[18:19], v[70:71] neg_lo:[0,0,1] neg_hi:[0,0,1]
	ds_write_b64 v74, v[4:5]
	v_pk_fma_f32 v[4:5], v[54:55], s[16:17], v[50:51] neg_lo:[0,0,1] neg_hi:[0,0,1]
	v_mov_b32_e32 v83, v7
	v_pk_fma_f32 v[8:9], v[52:53], s[16:17], v[96:97] neg_lo:[0,0,1] neg_hi:[0,0,1]
	v_pk_add_f32 v[64:65], v[66:67], v[64:65]
	v_mov_b32_e32 v125, v5
	v_pk_fma_f32 v[4:5], v[52:53], s[20:21], v[56:57] neg_lo:[0,0,1] neg_hi:[0,0,1]
	v_pk_add_f32 v[6:7], v[30:31], v[82:83]
	v_mov_b32_e32 v111, v9
	v_pk_fma_f32 v[8:9], v[68:69], s[36:37], v[108:109] neg_lo:[0,0,1] neg_hi:[0,0,1]
	ds_write2_b64 v75, v[78:79], v[64:65] offset0:50 offset1:100
	v_pk_add_f32 v[64:65], v[30:31], v[94:95]
	v_pk_add_f32 v[66:67], v[30:31], v[80:81]
	v_mov_b32_e32 v129, v5
	v_pk_add_f32 v[4:5], v[30:31], v[124:125]
	v_pk_add_f32 v[6:7], v[110:111], v[6:7]
	v_mov_b32_e32 v115, v9
	v_pk_fma_f32 v[2:3], v[2:3], s[20:21], v[112:113] neg_lo:[0,0,1] neg_hi:[0,0,1]
	v_pk_add_f32 v[64:65], v[98:99], v[64:65]
	v_pk_add_f32 v[66:67], v[84:85], v[66:67]
	;; [unrolled: 1-line block ×4, first 2 shown]
	v_mov_b32_e32 v119, v3
	v_pk_fma_f32 v[0:1], v[0:1], s[6:7], v[116:117] neg_lo:[0,0,1] neg_hi:[0,0,1]
	v_pk_add_f32 v[64:65], v[100:101], v[64:65]
	v_pk_add_f32 v[66:67], v[86:87], v[66:67]
	;; [unrolled: 1-line block ×4, first 2 shown]
	v_mov_b32_e32 v123, v1
	v_pk_add_f32 v[64:65], v[102:103], v[64:65]
	v_pk_add_f32 v[66:67], v[88:89], v[66:67]
	;; [unrolled: 1-line block ×4, first 2 shown]
	v_pk_fma_f32 v[2:3], v[48:49], s[22:23], v[120:121] neg_lo:[0,0,1] neg_hi:[0,0,1]
	v_pk_add_f32 v[64:65], v[104:105], v[64:65]
	v_pk_add_f32 v[66:67], v[90:91], v[66:67]
	;; [unrolled: 1-line block ×3, first 2 shown]
	v_mov_b32_e32 v127, v3
	v_pk_add_f32 v[64:65], v[106:107], v[64:65]
	v_pk_add_f32 v[66:67], v[92:93], v[66:67]
	;; [unrolled: 1-line block ×4, first 2 shown]
	v_add_u32_e32 v2, 0x1000, v75
	ds_write2_b64 v75, v[64:65], v[66:67] offset0:150 offset1:200
	ds_write2_b64 v2, v[4:5], v[0:1] offset0:38 offset1:88
.LBB0_16:
	s_or_b64 exec, exec, s[2:3]
	s_waitcnt lgkmcnt(0)
	s_barrier
	ds_read_b64 v[6:7], v74
	s_add_u32 s2, s4, 0x1400
	s_addc_u32 s3, s5, 0
	v_sub_u32_e32 v8, v25, v29
	v_cmp_ne_u32_e32 vcc, 0, v24
                                        ; implicit-def: $vgpr3
                                        ; implicit-def: $vgpr4_vgpr5
                                        ; implicit-def: $vgpr0_vgpr1
	s_and_saveexec_b64 s[4:5], vcc
	s_xor_b64 s[4:5], exec, s[4:5]
	s_cbranch_execz .LBB0_18
; %bb.17:
	v_mov_b32_e32 v25, 0
	v_lshl_add_u64 v[0:1], v[24:25], 3, s[2:3]
	global_load_dwordx2 v[0:1], v[0:1], off
	ds_read_b64 v[2:3], v8 offset:5200
	v_mov_b32_e32 v5, 0.5
	v_mov_b32_e32 v10, v5
	s_waitcnt lgkmcnt(0)
	v_pk_add_f32 v[12:13], v[2:3], v[6:7]
	v_pk_add_f32 v[2:3], v[6:7], v[2:3] neg_lo:[0,1] neg_hi:[0,1]
	v_mov_b32_e32 v6, v13
	v_mov_b32_e32 v7, v2
	v_pk_mul_f32 v[6:7], v[6:7], 0.5 op_sel_hi:[1,0]
	s_waitcnt vmcnt(0)
	v_mov_b32_e32 v4, v1
	v_mov_b32_e32 v2, v7
	;; [unrolled: 1-line block ×4, first 2 shown]
	v_pk_mul_f32 v[2:3], v[4:5], v[2:3]
	v_pk_mul_f32 v[14:15], v[0:1], v[6:7] op_sel_hi:[0,1]
	v_pk_fma_f32 v[16:17], v[12:13], v[10:11], v[2:3]
	v_pk_fma_f32 v[4:5], v[12:13], v[10:11], v[2:3] neg_lo:[0,0,1] neg_hi:[0,0,1]
	v_pk_fma_f32 v[2:3], v[0:1], v[6:7], v[16:17] op_sel_hi:[0,1,1] neg_lo:[1,0,0] neg_hi:[1,0,0]
	v_pk_fma_f32 v[4:5], v[0:1], v[6:7], v[4:5] op_sel_hi:[0,1,1] neg_lo:[1,0,0] neg_hi:[1,0,0]
	v_add_f32_e32 v2, v16, v14
	v_mov_b64_e32 v[0:1], v[24:25]
                                        ; implicit-def: $vgpr6_vgpr7
                                        ; implicit-def: $vgpr25
.LBB0_18:
	s_andn2_saveexec_b64 s[4:5], s[4:5]
	s_cbranch_execz .LBB0_20
; %bb.19:
	ds_read_b32 v1, v25 offset:2604
	s_waitcnt lgkmcnt(1)
	v_mov_b32_e32 v0, v7
	v_add_f32_e32 v2, v7, v6
	s_waitcnt lgkmcnt(0)
	v_pk_add_f32 v[4:5], v[6:7], v[0:1] neg_lo:[0,1] neg_hi:[0,1]
	s_nop 0
	v_mov_b32_e32 v5, 0
	v_xor_b32_e32 v0, 0x80000000, v1
	ds_write_b32 v25, v0 offset:2604
	v_mov_b64_e32 v[0:1], 0
	v_mov_b32_e32 v3, v5
.LBB0_20:
	s_or_b64 exec, exec, s[4:5]
	v_mov_b32_e32 v29, 0
	s_waitcnt lgkmcnt(0)
	v_lshl_add_u64 v[6:7], v[28:29], 3, s[2:3]
	global_load_dwordx2 v[6:7], v[6:7], off
	v_lshl_add_u64 v[10:11], v[0:1], 3, s[2:3]
	global_load_dwordx2 v[12:13], v[10:11], off offset:1040
	global_load_dwordx2 v[14:15], v[10:11], off offset:1560
	;; [unrolled: 1-line block ×3, first 2 shown]
	ds_write_b64 v74, v[2:3]
	ds_write_b64 v8, v[4:5] offset:5200
	ds_read_b64 v[2:3], v76
	ds_read_b64 v[4:5], v8 offset:4680
	v_mov_b32_e32 v11, 0.5
	v_mov_b32_e32 v18, v11
	s_waitcnt lgkmcnt(0)
	v_pk_add_f32 v[20:21], v[2:3], v[4:5]
	v_pk_add_f32 v[2:3], v[2:3], v[4:5] neg_lo:[0,1] neg_hi:[0,1]
	v_mov_b32_e32 v4, v21
	v_mov_b32_e32 v5, v2
	v_pk_mul_f32 v[4:5], v[4:5], 0.5 op_sel_hi:[1,0]
	s_waitcnt vmcnt(3)
	v_mov_b32_e32 v19, v7
	v_mov_b32_e32 v21, v4
	;; [unrolled: 1-line block ×4, first 2 shown]
	v_pk_mul_f32 v[18:19], v[20:21], v[18:19]
	s_nop 0
	v_pk_fma_f32 v[20:21], v[10:11], v[2:3], v[18:19] neg_lo:[1,0,0] neg_hi:[1,0,0]
	v_pk_fma_f32 v[2:3], v[10:11], v[2:3], v[18:19]
	v_pk_fma_f32 v[18:19], v[6:7], v[4:5], v[20:21] op_sel_hi:[0,1,1] neg_lo:[1,0,0] neg_hi:[1,0,0]
	v_pk_fma_f32 v[20:21], v[6:7], v[4:5], v[2:3] op_sel_hi:[0,1,1]
	v_pk_fma_f32 v[2:3], v[6:7], v[4:5], v[2:3] op_sel_hi:[0,1,1] neg_lo:[1,0,0] neg_hi:[1,0,0]
	v_mov_b32_e32 v21, v3
	ds_write_b64 v76, v[20:21]
	ds_write_b64 v8, v[18:19] offset:4680
	ds_read_b64 v[2:3], v74 offset:1040
	ds_read_b64 v[4:5], v8 offset:4160
	v_mov_b32_e32 v6, v11
	s_waitcnt vmcnt(2)
	v_mov_b32_e32 v7, v13
	v_mov_b32_e32 v10, v13
	s_waitcnt lgkmcnt(0)
	v_pk_add_f32 v[18:19], v[2:3], v[4:5]
	v_pk_add_f32 v[2:3], v[2:3], v[4:5] neg_lo:[0,1] neg_hi:[0,1]
	v_mov_b32_e32 v4, v19
	v_mov_b32_e32 v5, v2
	v_pk_mul_f32 v[4:5], v[4:5], 0.5 op_sel_hi:[1,0]
	s_nop 0
	v_mov_b32_e32 v19, v4
	v_mov_b32_e32 v2, v5
	v_pk_mul_f32 v[6:7], v[18:19], v[6:7]
	s_nop 0
	v_pk_fma_f32 v[18:19], v[10:11], v[2:3], v[6:7] neg_lo:[1,0,0] neg_hi:[1,0,0]
	v_pk_fma_f32 v[2:3], v[10:11], v[2:3], v[6:7]
	v_pk_fma_f32 v[6:7], v[12:13], v[4:5], v[18:19] op_sel_hi:[0,1,1] neg_lo:[1,0,0] neg_hi:[1,0,0]
	v_pk_fma_f32 v[18:19], v[12:13], v[4:5], v[2:3] op_sel_hi:[0,1,1]
	v_pk_fma_f32 v[2:3], v[12:13], v[4:5], v[2:3] op_sel_hi:[0,1,1] neg_lo:[1,0,0] neg_hi:[1,0,0]
	v_mov_b32_e32 v19, v3
	ds_write_b64 v74, v[18:19] offset:1040
	ds_write_b64 v8, v[6:7] offset:4160
	ds_read_b64 v[2:3], v74 offset:1560
	ds_read_b64 v[4:5], v8 offset:3640
	v_mov_b32_e32 v6, v11
	s_waitcnt vmcnt(1)
	v_mov_b32_e32 v7, v15
	v_mov_b32_e32 v10, v15
	s_waitcnt lgkmcnt(0)
	v_pk_add_f32 v[12:13], v[2:3], v[4:5]
	v_pk_add_f32 v[2:3], v[2:3], v[4:5] neg_lo:[0,1] neg_hi:[0,1]
	v_mov_b32_e32 v4, v13
	v_mov_b32_e32 v5, v2
	v_pk_mul_f32 v[4:5], v[4:5], 0.5 op_sel_hi:[1,0]
	s_nop 0
	v_mov_b32_e32 v13, v4
	v_mov_b32_e32 v2, v5
	v_pk_mul_f32 v[6:7], v[12:13], v[6:7]
	s_nop 0
	v_pk_fma_f32 v[12:13], v[10:11], v[2:3], v[6:7] neg_lo:[1,0,0] neg_hi:[1,0,0]
	v_pk_fma_f32 v[2:3], v[10:11], v[2:3], v[6:7]
	v_pk_fma_f32 v[6:7], v[14:15], v[4:5], v[12:13] op_sel_hi:[0,1,1] neg_lo:[1,0,0] neg_hi:[1,0,0]
	v_pk_fma_f32 v[12:13], v[14:15], v[4:5], v[2:3] op_sel_hi:[0,1,1]
	v_pk_fma_f32 v[2:3], v[14:15], v[4:5], v[2:3] op_sel_hi:[0,1,1] neg_lo:[1,0,0] neg_hi:[1,0,0]
	v_mov_b32_e32 v13, v3
	ds_write_b64 v74, v[12:13] offset:1560
	;; [unrolled: 25-line block ×3, first 2 shown]
	ds_write_b64 v8, v[6:7] offset:3120
	s_waitcnt lgkmcnt(0)
	s_barrier
	s_and_saveexec_b64 s[2:3], s[0:1]
	s_cbranch_execz .LBB0_23
; %bb.21:
	ds_read2_b64 v[2:5], v74 offset1:65
	ds_read2_b64 v[6:9], v74 offset0:130 offset1:195
	v_lshl_add_u64 v[14:15], v[0:1], 3, v[26:27]
	v_add_u32_e32 v0, 0x800, v74
	ds_read2_b64 v[10:13], v0 offset0:4 offset1:69
	s_waitcnt lgkmcnt(2)
	global_store_dwordx2 v[14:15], v[2:3], off
	global_store_dwordx2 v[14:15], v[4:5], off offset:520
	ds_read2_b64 v[0:3], v0 offset0:134 offset1:199
	s_waitcnt lgkmcnt(2)
	global_store_dwordx2 v[14:15], v[6:7], off offset:1040
	global_store_dwordx2 v[14:15], v[8:9], off offset:1560
	s_waitcnt lgkmcnt(1)
	global_store_dwordx2 v[14:15], v[10:11], off offset:2080
	global_store_dwordx2 v[14:15], v[12:13], off offset:2600
	;; [unrolled: 3-line block ×3, first 2 shown]
	v_add_u32_e32 v0, 0x1000, v74
	ds_read2_b64 v[0:3], v0 offset0:8 offset1:73
	v_add_co_u32_e32 v4, vcc, 0x1000, v14
	s_nop 1
	v_addc_co_u32_e32 v5, vcc, 0, v15, vcc
	v_cmp_eq_u32_e32 vcc, 64, v24
	s_waitcnt lgkmcnt(0)
	global_store_dwordx2 v[4:5], v[0:1], off offset:64
	global_store_dwordx2 v[4:5], v[2:3], off offset:584
	s_and_b64 exec, exec, vcc
	s_cbranch_execz .LBB0_23
; %bb.22:
	ds_read_b64 v[0:1], v74 offset:4688
	v_add_co_u32_e32 v2, vcc, 0x1000, v26
	s_nop 1
	v_addc_co_u32_e32 v3, vcc, 0, v27, vcc
	s_waitcnt lgkmcnt(0)
	global_store_dwordx2 v[2:3], v[0:1], off offset:1104
.LBB0_23:
	s_endpgm
	.section	.rodata,"a",@progbits
	.p2align	6, 0x0
	.amdhsa_kernel fft_rtc_fwd_len650_factors_10_5_13_wgs_195_tpt_65_sp_ip_CI_unitstride_sbrr_R2C_dirReg
		.amdhsa_group_segment_fixed_size 0
		.amdhsa_private_segment_fixed_size 0
		.amdhsa_kernarg_size 88
		.amdhsa_user_sgpr_count 2
		.amdhsa_user_sgpr_dispatch_ptr 0
		.amdhsa_user_sgpr_queue_ptr 0
		.amdhsa_user_sgpr_kernarg_segment_ptr 1
		.amdhsa_user_sgpr_dispatch_id 0
		.amdhsa_user_sgpr_kernarg_preload_length 0
		.amdhsa_user_sgpr_kernarg_preload_offset 0
		.amdhsa_user_sgpr_private_segment_size 0
		.amdhsa_uses_dynamic_stack 0
		.amdhsa_enable_private_segment 0
		.amdhsa_system_sgpr_workgroup_id_x 1
		.amdhsa_system_sgpr_workgroup_id_y 0
		.amdhsa_system_sgpr_workgroup_id_z 0
		.amdhsa_system_sgpr_workgroup_info 0
		.amdhsa_system_vgpr_workitem_id 0
		.amdhsa_next_free_vgpr 136
		.amdhsa_next_free_sgpr 50
		.amdhsa_accum_offset 136
		.amdhsa_reserve_vcc 1
		.amdhsa_float_round_mode_32 0
		.amdhsa_float_round_mode_16_64 0
		.amdhsa_float_denorm_mode_32 3
		.amdhsa_float_denorm_mode_16_64 3
		.amdhsa_dx10_clamp 1
		.amdhsa_ieee_mode 1
		.amdhsa_fp16_overflow 0
		.amdhsa_tg_split 0
		.amdhsa_exception_fp_ieee_invalid_op 0
		.amdhsa_exception_fp_denorm_src 0
		.amdhsa_exception_fp_ieee_div_zero 0
		.amdhsa_exception_fp_ieee_overflow 0
		.amdhsa_exception_fp_ieee_underflow 0
		.amdhsa_exception_fp_ieee_inexact 0
		.amdhsa_exception_int_div_zero 0
	.end_amdhsa_kernel
	.text
.Lfunc_end0:
	.size	fft_rtc_fwd_len650_factors_10_5_13_wgs_195_tpt_65_sp_ip_CI_unitstride_sbrr_R2C_dirReg, .Lfunc_end0-fft_rtc_fwd_len650_factors_10_5_13_wgs_195_tpt_65_sp_ip_CI_unitstride_sbrr_R2C_dirReg
                                        ; -- End function
	.section	.AMDGPU.csdata,"",@progbits
; Kernel info:
; codeLenInByte = 8376
; NumSgprs: 56
; NumVgprs: 136
; NumAgprs: 0
; TotalNumVgprs: 136
; ScratchSize: 0
; MemoryBound: 0
; FloatMode: 240
; IeeeMode: 1
; LDSByteSize: 0 bytes/workgroup (compile time only)
; SGPRBlocks: 6
; VGPRBlocks: 16
; NumSGPRsForWavesPerEU: 56
; NumVGPRsForWavesPerEU: 136
; AccumOffset: 136
; Occupancy: 3
; WaveLimiterHint : 1
; COMPUTE_PGM_RSRC2:SCRATCH_EN: 0
; COMPUTE_PGM_RSRC2:USER_SGPR: 2
; COMPUTE_PGM_RSRC2:TRAP_HANDLER: 0
; COMPUTE_PGM_RSRC2:TGID_X_EN: 1
; COMPUTE_PGM_RSRC2:TGID_Y_EN: 0
; COMPUTE_PGM_RSRC2:TGID_Z_EN: 0
; COMPUTE_PGM_RSRC2:TIDIG_COMP_CNT: 0
; COMPUTE_PGM_RSRC3_GFX90A:ACCUM_OFFSET: 33
; COMPUTE_PGM_RSRC3_GFX90A:TG_SPLIT: 0
	.text
	.p2alignl 6, 3212836864
	.fill 256, 4, 3212836864
	.type	__hip_cuid_69a04b13f9a8939e,@object ; @__hip_cuid_69a04b13f9a8939e
	.section	.bss,"aw",@nobits
	.globl	__hip_cuid_69a04b13f9a8939e
__hip_cuid_69a04b13f9a8939e:
	.byte	0                               ; 0x0
	.size	__hip_cuid_69a04b13f9a8939e, 1

	.ident	"AMD clang version 19.0.0git (https://github.com/RadeonOpenCompute/llvm-project roc-6.4.0 25133 c7fe45cf4b819c5991fe208aaa96edf142730f1d)"
	.section	".note.GNU-stack","",@progbits
	.addrsig
	.addrsig_sym __hip_cuid_69a04b13f9a8939e
	.amdgpu_metadata
---
amdhsa.kernels:
  - .agpr_count:     0
    .args:
      - .actual_access:  read_only
        .address_space:  global
        .offset:         0
        .size:           8
        .value_kind:     global_buffer
      - .offset:         8
        .size:           8
        .value_kind:     by_value
      - .actual_access:  read_only
        .address_space:  global
        .offset:         16
        .size:           8
        .value_kind:     global_buffer
      - .actual_access:  read_only
        .address_space:  global
        .offset:         24
        .size:           8
        .value_kind:     global_buffer
      - .offset:         32
        .size:           8
        .value_kind:     by_value
      - .actual_access:  read_only
        .address_space:  global
        .offset:         40
        .size:           8
        .value_kind:     global_buffer
      - .actual_access:  read_only
        .address_space:  global
        .offset:         48
        .size:           8
        .value_kind:     global_buffer
      - .offset:         56
        .size:           4
        .value_kind:     by_value
      - .actual_access:  read_only
        .address_space:  global
        .offset:         64
        .size:           8
        .value_kind:     global_buffer
      - .actual_access:  read_only
        .address_space:  global
        .offset:         72
        .size:           8
        .value_kind:     global_buffer
      - .address_space:  global
        .offset:         80
        .size:           8
        .value_kind:     global_buffer
    .group_segment_fixed_size: 0
    .kernarg_segment_align: 8
    .kernarg_segment_size: 88
    .language:       OpenCL C
    .language_version:
      - 2
      - 0
    .max_flat_workgroup_size: 195
    .name:           fft_rtc_fwd_len650_factors_10_5_13_wgs_195_tpt_65_sp_ip_CI_unitstride_sbrr_R2C_dirReg
    .private_segment_fixed_size: 0
    .sgpr_count:     56
    .sgpr_spill_count: 0
    .symbol:         fft_rtc_fwd_len650_factors_10_5_13_wgs_195_tpt_65_sp_ip_CI_unitstride_sbrr_R2C_dirReg.kd
    .uniform_work_group_size: 1
    .uses_dynamic_stack: false
    .vgpr_count:     136
    .vgpr_spill_count: 0
    .wavefront_size: 64
amdhsa.target:   amdgcn-amd-amdhsa--gfx950
amdhsa.version:
  - 1
  - 2
...

	.end_amdgpu_metadata
